;; amdgpu-corpus repo=ROCm/rocFFT kind=compiled arch=gfx1030 opt=O3
	.text
	.amdgcn_target "amdgcn-amd-amdhsa--gfx1030"
	.amdhsa_code_object_version 6
	.protected	fft_rtc_back_len312_factors_13_4_3_2_wgs_52_tpt_26_sp_op_CI_CI_sbrr_dirReg ; -- Begin function fft_rtc_back_len312_factors_13_4_3_2_wgs_52_tpt_26_sp_op_CI_CI_sbrr_dirReg
	.globl	fft_rtc_back_len312_factors_13_4_3_2_wgs_52_tpt_26_sp_op_CI_CI_sbrr_dirReg
	.p2align	8
	.type	fft_rtc_back_len312_factors_13_4_3_2_wgs_52_tpt_26_sp_op_CI_CI_sbrr_dirReg,@function
fft_rtc_back_len312_factors_13_4_3_2_wgs_52_tpt_26_sp_op_CI_CI_sbrr_dirReg: ; @fft_rtc_back_len312_factors_13_4_3_2_wgs_52_tpt_26_sp_op_CI_CI_sbrr_dirReg
; %bb.0:
	s_clause 0x2
	s_load_dwordx4 s[16:19], s[4:5], 0x18
	s_load_dwordx4 s[12:15], s[4:5], 0x0
	;; [unrolled: 1-line block ×3, first 2 shown]
	v_mul_u32_u24_e32 v1, 0x9d9, v0
	v_mov_b32_e32 v3, 0
	v_mov_b32_e32 v33, 0
	;; [unrolled: 1-line block ×3, first 2 shown]
	s_waitcnt lgkmcnt(0)
	s_load_dwordx2 s[20:21], s[16:17], 0x0
	s_load_dwordx2 s[2:3], s[18:19], 0x0
	v_lshrrev_b32_e32 v35, 16, v1
	v_cmp_lt_u64_e64 s0, s[14:15], 2
	v_mov_b32_e32 v8, v3
	v_lshl_add_u32 v7, s6, 1, v35
	s_and_b32 vcc_lo, exec_lo, s0
	s_cbranch_vccnz .LBB0_8
; %bb.1:
	s_load_dwordx2 s[0:1], s[4:5], 0x10
	v_mov_b32_e32 v33, 0
	v_mov_b32_e32 v34, 0
	s_add_u32 s6, s18, 8
	s_addc_u32 s7, s19, 0
	v_mov_b32_e32 v1, v33
	s_add_u32 s22, s16, 8
	v_mov_b32_e32 v2, v34
	s_addc_u32 s23, s17, 0
	s_mov_b64 s[26:27], 1
	s_waitcnt lgkmcnt(0)
	s_add_u32 s24, s0, 8
	s_addc_u32 s25, s1, 0
.LBB0_2:                                ; =>This Inner Loop Header: Depth=1
	s_load_dwordx2 s[28:29], s[24:25], 0x0
                                        ; implicit-def: $vgpr5_vgpr6
	s_mov_b32 s0, exec_lo
	s_waitcnt lgkmcnt(0)
	v_or_b32_e32 v4, s29, v8
	v_cmpx_ne_u64_e32 0, v[3:4]
	s_xor_b32 s1, exec_lo, s0
	s_cbranch_execz .LBB0_4
; %bb.3:                                ;   in Loop: Header=BB0_2 Depth=1
	v_cvt_f32_u32_e32 v4, s28
	v_cvt_f32_u32_e32 v5, s29
	s_sub_u32 s0, 0, s28
	s_subb_u32 s30, 0, s29
	v_fmac_f32_e32 v4, 0x4f800000, v5
	v_rcp_f32_e32 v4, v4
	v_mul_f32_e32 v4, 0x5f7ffffc, v4
	v_mul_f32_e32 v5, 0x2f800000, v4
	v_trunc_f32_e32 v5, v5
	v_fmac_f32_e32 v4, 0xcf800000, v5
	v_cvt_u32_f32_e32 v5, v5
	v_cvt_u32_f32_e32 v4, v4
	v_mul_lo_u32 v6, s0, v5
	v_mul_hi_u32 v9, s0, v4
	v_mul_lo_u32 v10, s30, v4
	v_add_nc_u32_e32 v6, v9, v6
	v_mul_lo_u32 v9, s0, v4
	v_add_nc_u32_e32 v6, v6, v10
	v_mul_hi_u32 v10, v4, v9
	v_mul_lo_u32 v11, v4, v6
	v_mul_hi_u32 v12, v4, v6
	v_mul_hi_u32 v13, v5, v9
	v_mul_lo_u32 v9, v5, v9
	v_mul_hi_u32 v14, v5, v6
	v_mul_lo_u32 v6, v5, v6
	v_add_co_u32 v10, vcc_lo, v10, v11
	v_add_co_ci_u32_e32 v11, vcc_lo, 0, v12, vcc_lo
	v_add_co_u32 v9, vcc_lo, v10, v9
	v_add_co_ci_u32_e32 v9, vcc_lo, v11, v13, vcc_lo
	v_add_co_ci_u32_e32 v10, vcc_lo, 0, v14, vcc_lo
	v_add_co_u32 v6, vcc_lo, v9, v6
	v_add_co_ci_u32_e32 v9, vcc_lo, 0, v10, vcc_lo
	v_add_co_u32 v4, vcc_lo, v4, v6
	v_add_co_ci_u32_e32 v5, vcc_lo, v5, v9, vcc_lo
	v_mul_hi_u32 v6, s0, v4
	v_mul_lo_u32 v10, s30, v4
	v_mul_lo_u32 v9, s0, v5
	v_add_nc_u32_e32 v6, v6, v9
	v_mul_lo_u32 v9, s0, v4
	v_add_nc_u32_e32 v6, v6, v10
	v_mul_hi_u32 v10, v4, v9
	v_mul_lo_u32 v11, v4, v6
	v_mul_hi_u32 v12, v4, v6
	v_mul_hi_u32 v13, v5, v9
	v_mul_lo_u32 v9, v5, v9
	v_mul_hi_u32 v14, v5, v6
	v_mul_lo_u32 v6, v5, v6
	v_add_co_u32 v10, vcc_lo, v10, v11
	v_add_co_ci_u32_e32 v11, vcc_lo, 0, v12, vcc_lo
	v_add_co_u32 v9, vcc_lo, v10, v9
	v_add_co_ci_u32_e32 v9, vcc_lo, v11, v13, vcc_lo
	v_add_co_ci_u32_e32 v10, vcc_lo, 0, v14, vcc_lo
	v_add_co_u32 v6, vcc_lo, v9, v6
	v_add_co_ci_u32_e32 v9, vcc_lo, 0, v10, vcc_lo
	v_add_co_u32 v6, vcc_lo, v4, v6
	v_add_co_ci_u32_e32 v11, vcc_lo, v5, v9, vcc_lo
	v_mul_hi_u32 v13, v7, v6
	v_mad_u64_u32 v[9:10], null, v8, v6, 0
	v_mad_u64_u32 v[4:5], null, v7, v11, 0
	;; [unrolled: 1-line block ×3, first 2 shown]
	v_add_co_u32 v4, vcc_lo, v13, v4
	v_add_co_ci_u32_e32 v5, vcc_lo, 0, v5, vcc_lo
	v_add_co_u32 v4, vcc_lo, v4, v9
	v_add_co_ci_u32_e32 v4, vcc_lo, v5, v10, vcc_lo
	v_add_co_ci_u32_e32 v5, vcc_lo, 0, v12, vcc_lo
	v_add_co_u32 v9, vcc_lo, v4, v11
	v_add_co_ci_u32_e32 v6, vcc_lo, 0, v5, vcc_lo
	v_mul_lo_u32 v10, s29, v9
	v_mad_u64_u32 v[4:5], null, s28, v9, 0
	v_mul_lo_u32 v11, s28, v6
	v_sub_co_u32 v4, vcc_lo, v7, v4
	v_add3_u32 v5, v5, v11, v10
	v_sub_nc_u32_e32 v10, v8, v5
	v_subrev_co_ci_u32_e64 v10, s0, s29, v10, vcc_lo
	v_add_co_u32 v11, s0, v9, 2
	v_add_co_ci_u32_e64 v12, s0, 0, v6, s0
	v_sub_co_u32 v13, s0, v4, s28
	v_sub_co_ci_u32_e32 v5, vcc_lo, v8, v5, vcc_lo
	v_subrev_co_ci_u32_e64 v10, s0, 0, v10, s0
	v_cmp_le_u32_e32 vcc_lo, s28, v13
	v_cmp_eq_u32_e64 s0, s29, v5
	v_cndmask_b32_e64 v13, 0, -1, vcc_lo
	v_cmp_le_u32_e32 vcc_lo, s29, v10
	v_cndmask_b32_e64 v14, 0, -1, vcc_lo
	v_cmp_le_u32_e32 vcc_lo, s28, v4
	v_cndmask_b32_e64 v4, 0, -1, vcc_lo
	v_cmp_le_u32_e32 vcc_lo, s29, v5
	v_cndmask_b32_e64 v15, 0, -1, vcc_lo
	v_cmp_eq_u32_e32 vcc_lo, s29, v10
	v_cndmask_b32_e64 v4, v15, v4, s0
	v_cndmask_b32_e32 v10, v14, v13, vcc_lo
	v_add_co_u32 v13, vcc_lo, v9, 1
	v_add_co_ci_u32_e32 v14, vcc_lo, 0, v6, vcc_lo
	v_cmp_ne_u32_e32 vcc_lo, 0, v10
	v_cndmask_b32_e32 v5, v14, v12, vcc_lo
	v_cndmask_b32_e32 v10, v13, v11, vcc_lo
	v_cmp_ne_u32_e32 vcc_lo, 0, v4
	v_cndmask_b32_e32 v6, v6, v5, vcc_lo
	v_cndmask_b32_e32 v5, v9, v10, vcc_lo
.LBB0_4:                                ;   in Loop: Header=BB0_2 Depth=1
	s_andn2_saveexec_b32 s0, s1
	s_cbranch_execz .LBB0_6
; %bb.5:                                ;   in Loop: Header=BB0_2 Depth=1
	v_cvt_f32_u32_e32 v4, s28
	s_sub_i32 s1, 0, s28
	v_rcp_iflag_f32_e32 v4, v4
	v_mul_f32_e32 v4, 0x4f7ffffe, v4
	v_cvt_u32_f32_e32 v4, v4
	v_mul_lo_u32 v5, s1, v4
	v_mul_hi_u32 v5, v4, v5
	v_add_nc_u32_e32 v4, v4, v5
	v_mul_hi_u32 v4, v7, v4
	v_mul_lo_u32 v5, v4, s28
	v_add_nc_u32_e32 v6, 1, v4
	v_sub_nc_u32_e32 v5, v7, v5
	v_subrev_nc_u32_e32 v9, s28, v5
	v_cmp_le_u32_e32 vcc_lo, s28, v5
	v_cndmask_b32_e32 v5, v5, v9, vcc_lo
	v_cndmask_b32_e32 v4, v4, v6, vcc_lo
	v_cmp_le_u32_e32 vcc_lo, s28, v5
	v_add_nc_u32_e32 v6, 1, v4
	v_cndmask_b32_e32 v5, v4, v6, vcc_lo
	v_mov_b32_e32 v6, v3
.LBB0_6:                                ;   in Loop: Header=BB0_2 Depth=1
	s_or_b32 exec_lo, exec_lo, s0
	v_mul_lo_u32 v4, v6, s28
	v_mul_lo_u32 v11, v5, s29
	s_load_dwordx2 s[0:1], s[22:23], 0x0
	v_mad_u64_u32 v[9:10], null, v5, s28, 0
	s_load_dwordx2 s[28:29], s[6:7], 0x0
	s_add_u32 s26, s26, 1
	s_addc_u32 s27, s27, 0
	s_add_u32 s6, s6, 8
	s_addc_u32 s7, s7, 0
	s_add_u32 s22, s22, 8
	v_add3_u32 v4, v10, v11, v4
	v_sub_co_u32 v7, vcc_lo, v7, v9
	s_addc_u32 s23, s23, 0
	s_add_u32 s24, s24, 8
	v_sub_co_ci_u32_e32 v4, vcc_lo, v8, v4, vcc_lo
	s_addc_u32 s25, s25, 0
	s_waitcnt lgkmcnt(0)
	v_mul_lo_u32 v8, s0, v4
	v_mul_lo_u32 v9, s1, v7
	v_mad_u64_u32 v[33:34], null, s0, v7, v[33:34]
	v_mul_lo_u32 v4, s28, v4
	v_mul_lo_u32 v10, s29, v7
	v_mad_u64_u32 v[1:2], null, s28, v7, v[1:2]
	v_cmp_ge_u64_e64 s0, s[26:27], s[14:15]
	v_add3_u32 v34, v9, v34, v8
	v_add3_u32 v2, v10, v2, v4
	s_and_b32 vcc_lo, exec_lo, s0
	s_cbranch_vccnz .LBB0_9
; %bb.7:                                ;   in Loop: Header=BB0_2 Depth=1
	v_mov_b32_e32 v8, v6
	v_mov_b32_e32 v7, v5
	s_branch .LBB0_2
.LBB0_8:
	v_mov_b32_e32 v1, v33
	v_mov_b32_e32 v5, v7
	;; [unrolled: 1-line block ×4, first 2 shown]
.LBB0_9:
	s_load_dwordx2 s[0:1], s[4:5], 0x28
	v_mul_hi_u32 v3, 0x9d89d8a, v0
	s_lshl_b64 s[6:7], s[14:15], 3
	v_mov_b32_e32 v8, 0
	v_mov_b32_e32 v7, 0
	s_add_u32 s4, s18, s6
	s_addc_u32 s5, s19, s7
                                        ; implicit-def: $vgpr14
                                        ; implicit-def: $vgpr12
                                        ; implicit-def: $vgpr10
                                        ; implicit-def: $vgpr28
                                        ; implicit-def: $vgpr20
                                        ; implicit-def: $vgpr18
                                        ; implicit-def: $vgpr32
                                        ; implicit-def: $vgpr30
                                        ; implicit-def: $vgpr24
                                        ; implicit-def: $vgpr16
                                        ; implicit-def: $vgpr22
                                        ; implicit-def: $vgpr26
	v_mul_u32_u24_e32 v3, 26, v3
	v_sub_nc_u32_e32 v3, v0, v3
	s_waitcnt lgkmcnt(0)
	v_cmp_gt_u64_e32 vcc_lo, s[0:1], v[5:6]
	v_cmp_gt_u32_e64 s0, 24, v3
	s_and_b32 s1, vcc_lo, s0
	s_and_saveexec_b32 s14, s1
	s_cbranch_execz .LBB0_11
; %bb.10:
	s_add_u32 s6, s16, s6
	s_addc_u32 s7, s17, s7
	v_mad_u64_u32 v[7:8], null, s20, v3, 0
	s_load_dwordx2 s[6:7], s[6:7], 0x0
	v_add_nc_u32_e32 v22, 24, v3
	v_add_nc_u32_e32 v24, 48, v3
	;; [unrolled: 1-line block ×3, first 2 shown]
	v_or_b32_e32 v26, 0x60, v3
	v_lshlrev_b64 v[9:10], 3, v[33:34]
	v_mov_b32_e32 v0, v8
	v_mad_u64_u32 v[11:12], null, s20, v22, 0
	v_mad_u64_u32 v[13:14], null, s20, v24, 0
	;; [unrolled: 1-line block ×4, first 2 shown]
	v_mov_b32_e32 v0, v12
	v_mad_u64_u32 v[20:21], null, s20, v26, 0
	v_mov_b32_e32 v4, v14
	v_mov_b32_e32 v12, v16
	s_waitcnt lgkmcnt(0)
	v_mul_lo_u32 v8, s7, v5
	v_mul_lo_u32 v23, s6, v6
	v_mad_u64_u32 v[17:18], null, s6, v5, 0
	v_add_nc_u32_e32 v27, 0xd8, v3
	v_add_nc_u32_e32 v28, 0xf0, v3
	v_mad_u64_u32 v[31:32], null, s20, v27, 0
	v_add3_u32 v18, v18, v23, v8
	v_mad_u64_u32 v[22:23], null, s21, v22, v[0:1]
	v_mov_b32_e32 v8, v19
	v_mad_u64_u32 v[23:24], null, s21, v24, v[4:5]
	v_lshlrev_b64 v[16:17], 3, v[17:18]
	v_mad_u64_u32 v[18:19], null, s21, v25, v[12:13]
	v_mov_b32_e32 v12, v22
	v_add_nc_u32_e32 v24, 0x78, v3
	v_lshlrev_b64 v[7:8], 3, v[7:8]
	v_add_co_u32 v0, s1, s8, v16
	v_add_co_ci_u32_e64 v4, s1, s9, v17, s1
	v_mov_b32_e32 v14, v23
	v_add_co_u32 v42, s1, v0, v9
	v_mov_b32_e32 v16, v18
	v_mov_b32_e32 v0, v21
	v_add_co_ci_u32_e64 v4, s1, v4, v10, s1
	v_lshlrev_b64 v[9:10], 3, v[11:12]
	v_lshlrev_b64 v[11:12], 3, v[13:14]
	;; [unrolled: 1-line block ×3, first 2 shown]
	v_mad_u64_u32 v[15:16], null, s21, v26, v[0:1]
	v_mad_u64_u32 v[16:17], null, s20, v24, 0
	v_add_co_u32 v7, s1, v42, v7
	v_add_co_ci_u32_e64 v8, s1, v4, v8, s1
	v_add_co_u32 v9, s1, v42, v9
	v_mov_b32_e32 v0, v17
	v_add_nc_u32_e32 v26, 0x90, v3
	v_add_co_ci_u32_e64 v10, s1, v4, v10, s1
	v_add_co_u32 v11, s1, v42, v11
	v_mad_u64_u32 v[24:25], null, s21, v24, v[0:1]
	v_add_co_ci_u32_e64 v12, s1, v4, v12, s1
	v_mov_b32_e32 v21, v15
	v_mad_u64_u32 v[22:23], null, s20, v26, 0
	v_add_nc_u32_e32 v25, 0xa8, v3
	v_add_co_u32 v18, s1, v42, v13
	v_add_co_ci_u32_e64 v19, s1, v4, v14, s1
	s_clause 0x3
	global_load_dwordx2 v[7:8], v[7:8], off
	global_load_dwordx2 v[13:14], v[9:10], off
	;; [unrolled: 1-line block ×4, first 2 shown]
	v_lshlrev_b64 v[18:19], 3, v[20:21]
	v_mad_u64_u32 v[20:21], null, s20, v25, 0
	v_mov_b32_e32 v0, v23
	v_mov_b32_e32 v17, v24
	v_mad_u64_u32 v[33:34], null, s20, v28, 0
	v_add_co_u32 v18, s1, v42, v18
	v_mad_u64_u32 v[23:24], null, s21, v26, v[0:1]
	v_mov_b32_e32 v0, v21
	v_lshlrev_b64 v[15:16], 3, v[16:17]
	v_or_b32_e32 v17, 0xc0, v3
	v_add_co_ci_u32_e64 v19, s1, v4, v19, s1
	v_mad_u64_u32 v[24:25], null, s21, v25, v[0:1]
	v_mad_u64_u32 v[29:30], null, s20, v17, 0
	v_lshlrev_b64 v[22:23], 3, v[22:23]
	v_add_co_u32 v15, s1, v42, v15
	v_add_co_ci_u32_e64 v16, s1, v4, v16, s1
	v_mov_b32_e32 v21, v24
	v_mov_b32_e32 v0, v30
	v_add_co_u32 v22, s1, v42, v22
	v_add_co_ci_u32_e64 v23, s1, v4, v23, s1
	v_lshlrev_b64 v[20:21], 3, v[20:21]
	v_mad_u64_u32 v[24:25], null, s21, v17, v[0:1]
	v_mov_b32_e32 v0, v32
	v_add_co_u32 v25, s1, v42, v20
	v_add_co_ci_u32_e64 v26, s1, v4, v21, s1
	v_add_nc_u32_e32 v21, 0x108, v3
	v_mad_u64_u32 v[36:37], null, s21, v27, v[0:1]
	v_mov_b32_e32 v0, v34
	v_mov_b32_e32 v30, v24
	v_or_b32_e32 v24, 0x120, v3
	v_mad_u64_u32 v[37:38], null, s20, v21, 0
	v_mad_u64_u32 v[39:40], null, s21, v28, v[0:1]
	;; [unrolled: 1-line block ×3, first 2 shown]
	s_clause 0x3
	global_load_dwordx2 v[27:28], v[18:19], off
	global_load_dwordx2 v[19:20], v[15:16], off
	;; [unrolled: 1-line block ×4, first 2 shown]
	v_mov_b32_e32 v32, v36
	v_mov_b32_e32 v0, v38
	v_lshlrev_b64 v[15:16], 3, v[29:30]
	v_mov_b32_e32 v34, v39
	v_mad_u64_u32 v[21:22], null, s21, v21, v[0:1]
	v_mov_b32_e32 v0, v41
	v_lshlrev_b64 v[22:23], 3, v[31:32]
	v_add_co_u32 v15, s1, v42, v15
	v_add_co_ci_u32_e64 v16, s1, v4, v16, s1
	v_mad_u64_u32 v[29:30], null, s21, v24, v[0:1]
	v_mov_b32_e32 v38, v21
	v_lshlrev_b64 v[30:31], 3, v[33:34]
	v_add_co_u32 v21, s1, v42, v22
	v_add_co_ci_u32_e64 v22, s1, v4, v23, s1
	v_mov_b32_e32 v41, v29
	v_lshlrev_b64 v[23:24], 3, v[37:38]
	v_add_co_u32 v33, s1, v42, v30
	v_add_co_ci_u32_e64 v34, s1, v4, v31, s1
	v_lshlrev_b64 v[29:30], 3, v[40:41]
	v_add_co_u32 v36, s1, v42, v23
	v_add_co_ci_u32_e64 v37, s1, v4, v24, s1
	v_add_co_u32 v38, s1, v42, v29
	v_add_co_ci_u32_e64 v39, s1, v4, v30, s1
	s_clause 0x4
	global_load_dwordx2 v[31:32], v[15:16], off
	global_load_dwordx2 v[29:30], v[21:22], off
	;; [unrolled: 1-line block ×5, first 2 shown]
.LBB0_11:
	s_or_b32 exec_lo, exec_lo, s14
	v_and_b32_e32 v0, 1, v35
	v_cmp_eq_u32_e64 s1, 1, v0
	v_cndmask_b32_e64 v0, 0, 0x138, s1
	v_lshlrev_b32_e32 v0, 3, v0
	s_and_saveexec_b32 s1, s0
	s_cbranch_execz .LBB0_13
; %bb.12:
	s_waitcnt vmcnt(0)
	v_sub_f32_e32 v45, v13, v15
	v_add_f32_e32 v36, v14, v16
	v_sub_f32_e32 v44, v11, v21
	v_add_f32_e32 v33, v12, v22
	v_sub_f32_e32 v43, v9, v23
	v_mul_f32_e32 v53, 0xbf7e222b, v45
	v_add_f32_e32 v34, v10, v24
	v_mul_f32_e32 v50, 0xbe750f2a, v44
	v_sub_f32_e32 v41, v27, v29
	v_mul_f32_e32 v51, 0x3f6f5d39, v43
	v_fmamk_f32 v37, v36, 0x3df6dbef, v53
	v_add_f32_e32 v4, v28, v30
	v_fmamk_f32 v38, v33, 0xbf788fa5, v50
	v_sub_f32_e32 v47, v14, v16
	v_mul_f32_e32 v54, 0x3eedf032, v41
	v_add_f32_e32 v39, v8, v37
	v_add_f32_e32 v37, v13, v15
	v_fmamk_f32 v40, v34, 0xbeb58ec6, v51
	v_sub_f32_e32 v48, v12, v22
	v_fmamk_f32 v46, v4, 0x3f62ad3f, v54
	v_add_f32_e32 v39, v39, v38
	v_add_f32_e32 v38, v11, v21
	v_mul_f32_e32 v56, 0x3df6dbef, v37
	v_add_f32_e32 v14, v8, v14
	v_add_f32_e32 v13, v7, v13
	;; [unrolled: 1-line block ×4, first 2 shown]
	v_fmamk_f32 v49, v47, 0x3f7e222b, v56
	v_mul_f32_e32 v57, 0xbf788fa5, v38
	v_sub_f32_e32 v42, v19, v31
	v_add_f32_e32 v58, v46, v40
	v_mul_f32_e32 v55, 0xbeb58ec6, v39
	v_add_f32_e32 v60, v7, v49
	v_fmamk_f32 v61, v48, 0x3e750f2a, v57
	v_sub_f32_e32 v49, v10, v24
	v_add_f32_e32 v40, v27, v29
	v_add_f32_e32 v12, v14, v12
	;; [unrolled: 1-line block ×4, first 2 shown]
	v_fmamk_f32 v61, v49, 0xbf6f5d39, v55
	v_mul_f32_e32 v62, 0x3f62ad3f, v40
	v_sub_f32_e32 v63, v28, v30
	v_add_f32_e32 v13, v19, v31
	v_add_f32_e32 v35, v20, v32
	v_mul_f32_e32 v52, 0xbf52af12, v42
	v_add_f32_e32 v60, v61, v60
	v_add_f32_e32 v10, v12, v10
	;; [unrolled: 1-line block ×3, first 2 shown]
	v_fmamk_f32 v11, v63, 0xbeedf032, v62
	v_mul_f32_e32 v61, 0x3f116cb1, v13
	v_sub_f32_e32 v64, v20, v32
	v_fmamk_f32 v59, v35, 0x3f116cb1, v52
	v_add_f32_e32 v10, v10, v28
	v_add_f32_e32 v11, v11, v60
	;; [unrolled: 1-line block ×3, first 2 shown]
	v_fmamk_f32 v12, v64, 0x3f52af12, v61
	v_add_f32_e32 v9, v9, v27
	v_add_f32_e32 v27, v59, v58
	v_sub_f32_e32 v60, v18, v26
	v_mul_f32_e32 v59, 0xbf3f9e67, v28
	v_add_f32_e32 v11, v12, v11
	v_add_f32_e32 v12, v10, v20
	v_sub_f32_e32 v46, v17, v25
	v_add_f32_e32 v9, v9, v19
	v_fmamk_f32 v19, v60, 0x3f29c268, v59
	v_add_f32_e32 v14, v18, v26
	v_add_f32_e32 v12, v12, v18
	v_mul_f32_e32 v65, 0xbf29c268, v46
	v_add_f32_e32 v17, v9, v17
	v_add_f32_e32 v9, v19, v11
	v_mul_f32_e32 v66, 0xbf6f5d39, v45
	v_add_f32_e32 v11, v12, v26
	v_fmamk_f32 v58, v14, 0xbf3f9e67, v65
	v_add_f32_e32 v12, v17, v25
	v_mul_f32_e32 v26, 0xbeb58ec6, v37
	v_fmamk_f32 v18, v36, 0xbeb58ec6, v66
	v_add_f32_e32 v11, v32, v11
	v_add_f32_e32 v10, v58, v27
	v_mul_f32_e32 v27, 0x3f29c268, v44
	v_add_f32_e32 v12, v31, v12
	v_fmamk_f32 v19, v47, 0x3f6f5d39, v26
	v_add_f32_e32 v11, v30, v11
	v_mul_f32_e32 v30, 0xbf3f9e67, v38
	v_add_f32_e32 v17, v8, v18
	v_fmamk_f32 v18, v33, 0xbf3f9e67, v27
	v_mul_f32_e32 v25, 0x3eedf032, v43
	v_add_f32_e32 v12, v29, v12
	v_add_f32_e32 v19, v7, v19
	;; [unrolled: 1-line block ×3, first 2 shown]
	v_fmamk_f32 v20, v48, 0xbf29c268, v30
	v_mul_f32_e32 v24, 0x3f62ad3f, v39
	v_add_f32_e32 v17, v17, v18
	v_fmamk_f32 v18, v34, 0x3f62ad3f, v25
	v_mul_f32_e32 v29, 0xbf7e222b, v41
	v_add_f32_e32 v12, v23, v12
	v_add_f32_e32 v19, v19, v20
	v_fmamk_f32 v20, v49, 0xbeedf032, v24
	v_add_f32_e32 v17, v18, v17
	v_fmamk_f32 v18, v4, 0x3df6dbef, v29
	v_add_f32_e32 v11, v22, v11
	v_add_f32_e32 v21, v21, v12
	v_mul_f32_e32 v23, 0x3df6dbef, v40
	v_add_f32_e32 v19, v20, v19
	v_mul_f32_e32 v20, 0xbf29c268, v45
	v_add_f32_e32 v12, v16, v11
	v_add_f32_e32 v11, v15, v21
	v_fmamk_f32 v15, v63, 0x3f7e222b, v23
	v_add_f32_e32 v16, v18, v17
	v_fmamk_f32 v17, v36, 0xbf3f9e67, v20
	v_mul_f32_e32 v21, 0x3f7e222b, v44
	v_mul_f32_e32 v32, 0xbf788fa5, v13
	v_add_f32_e32 v15, v15, v19
	v_mul_f32_e32 v68, 0xbf3f9e67, v37
	v_add_f32_e32 v17, v8, v17
	v_fmamk_f32 v19, v33, 0x3df6dbef, v21
	v_mul_f32_e32 v31, 0x3e750f2a, v42
	v_fmamk_f32 v67, v64, 0xbe750f2a, v32
	v_mul_f32_e32 v70, 0x3df6dbef, v38
	v_mul_f32_e32 v58, 0x3f52af12, v46
	v_add_f32_e32 v17, v17, v19
	v_fmamk_f32 v19, v47, 0x3f29c268, v68
	v_fmamk_f32 v18, v35, 0xbf788fa5, v31
	v_mul_f32_e32 v22, 0xbf52af12, v43
	v_add_f32_e32 v15, v67, v15
	v_fmamk_f32 v67, v48, 0xbf7e222b, v70
	v_add_f32_e32 v19, v7, v19
	v_mul_f32_e32 v73, 0x3f116cb1, v39
	v_add_f32_e32 v16, v18, v16
	v_mul_f32_e32 v69, 0x3f116cb1, v28
	v_fmamk_f32 v18, v34, 0x3f116cb1, v22
	v_mul_f32_e32 v71, 0x3e750f2a, v41
	v_fmamk_f32 v72, v14, 0x3f116cb1, v58
	v_add_f32_e32 v19, v19, v67
	v_fmamk_f32 v67, v49, 0x3f52af12, v73
	v_mul_f32_e32 v75, 0xbf788fa5, v40
	v_fmamk_f32 v74, v60, 0xbf52af12, v69
	v_add_f32_e32 v17, v18, v17
	v_fmamk_f32 v18, v4, 0xbf788fa5, v71
	v_mul_f32_e32 v76, 0x3eedf032, v42
	v_add_f32_e32 v16, v72, v16
	v_add_f32_e32 v19, v67, v19
	v_fmamk_f32 v67, v63, 0xbe750f2a, v75
	v_mul_f32_e32 v72, 0x3f62ad3f, v13
	v_add_f32_e32 v15, v74, v15
	;; [unrolled: 4-line block ×3, first 2 shown]
	v_fmamk_f32 v67, v64, 0xbeedf032, v72
	v_mul_f32_e32 v77, 0xbeb58ec6, v28
	v_mul_f32_e32 v78, 0xbe750f2a, v45
	v_add_f32_e32 v17, v18, v17
	v_fmamk_f32 v18, v14, 0xbeb58ec6, v74
	v_add_f32_e32 v19, v67, v19
	v_fmamk_f32 v67, v60, 0x3f6f5d39, v77
	v_mul_f32_e32 v79, 0xbe750f2a, v47
	v_fma_f32 v80, 0xbf788fa5, v36, -v78
	v_mul_f32_e32 v81, 0x3eedf032, v44
	v_add_f32_e32 v18, v18, v17
	v_add_f32_e32 v17, v67, v19
	v_fmamk_f32 v19, v37, 0xbf788fa5, v79
	v_mul_f32_e32 v67, 0x3eedf032, v48
	v_add_f32_e32 v80, v8, v80
	v_fma_f32 v82, 0x3f62ad3f, v33, -v81
	v_mul_f32_e32 v83, 0xbf29c268, v43
	v_add_f32_e32 v19, v7, v19
	v_fmamk_f32 v84, v38, 0x3f62ad3f, v67
	v_mul_f32_e32 v85, 0xbf29c268, v49
	v_add_f32_e32 v80, v80, v82
	v_fma_f32 v82, 0xbf3f9e67, v34, -v83
	v_mul_f32_e32 v86, 0x3f52af12, v41
	;; [unrolled: 6-line block ×3, first 2 shown]
	v_add_f32_e32 v19, v84, v19
	v_fmamk_f32 v84, v40, 0x3f116cb1, v87
	v_mul_f32_e32 v89, 0xbf6f5d39, v64
	v_fma_f32 v20, 0xbf3f9e67, v36, -v20
	v_add_f32_e32 v80, v82, v80
	v_fma_f32 v82, 0xbeb58ec6, v35, -v88
	v_add_f32_e32 v19, v84, v19
	v_fmamk_f32 v84, v13, 0xbeb58ec6, v89
	v_add_f32_e32 v20, v8, v20
	v_fma_f32 v21, 0x3df6dbef, v33, -v21
	v_add_f32_e32 v80, v82, v80
	v_mul_f32_e32 v82, 0x3f7e222b, v46
	v_add_f32_e32 v19, v84, v19
	v_fmac_f32_e32 v68, 0xbf29c268, v47
	v_add_f32_e32 v20, v20, v21
	v_fma_f32 v21, 0x3f116cb1, v34, -v22
	v_fma_f32 v22, 0x3df6dbef, v14, -v82
	v_mul_f32_e32 v84, 0x3f7e222b, v60
	v_add_f32_e32 v68, v7, v68
	v_fmac_f32_e32 v70, 0x3f7e222b, v48
	v_add_f32_e32 v21, v21, v20
	v_add_f32_e32 v20, v22, v80
	v_fmamk_f32 v22, v28, 0x3df6dbef, v84
	v_fmac_f32_e32 v73, 0xbf52af12, v49
	v_add_f32_e32 v68, v68, v70
	v_fma_f32 v71, 0xbf788fa5, v4, -v71
	v_fmac_f32_e32 v75, 0x3e750f2a, v63
	v_add_f32_e32 v19, v22, v19
	v_fma_f32 v22, 0xbeb58ec6, v36, -v66
	v_add_f32_e32 v66, v73, v68
	v_fmac_f32_e32 v26, 0xbf6f5d39, v47
	v_fma_f32 v27, 0xbf3f9e67, v33, -v27
	v_add_f32_e32 v21, v71, v21
	v_add_f32_e32 v22, v8, v22
	v_fma_f32 v70, 0x3f62ad3f, v35, -v76
	v_add_f32_e32 v66, v75, v66
	v_fmac_f32_e32 v72, 0x3eedf032, v64
	v_add_f32_e32 v26, v7, v26
	v_fmac_f32_e32 v30, 0x3f29c268, v48
	v_add_f32_e32 v22, v22, v27
	v_fma_f32 v25, 0x3f62ad3f, v34, -v25
	v_add_f32_e32 v21, v70, v21
	v_add_f32_e32 v27, v72, v66
	v_fma_f32 v66, 0xbeb58ec6, v14, -v74
	v_add_f32_e32 v26, v26, v30
	v_fmac_f32_e32 v24, 0x3eedf032, v49
	v_add_f32_e32 v25, v25, v22
	v_fma_f32 v29, 0x3df6dbef, v4, -v29
	v_fmac_f32_e32 v77, 0xbf6f5d39, v60
	v_add_f32_e32 v22, v66, v21
	v_add_f32_e32 v24, v24, v26
	v_fmac_f32_e32 v23, 0xbf7e222b, v63
	v_add_f32_e32 v25, v29, v25
	v_fma_f32 v26, 0xbf788fa5, v35, -v31
	v_add_f32_e32 v21, v77, v27
	v_fma_f32 v27, 0x3df6dbef, v36, -v53
	v_add_f32_e32 v23, v23, v24
	v_fmac_f32_e32 v56, 0xbf7e222b, v47
	v_add_f32_e32 v24, v26, v25
	v_fma_f32 v26, 0xbf788fa5, v33, -v50
	v_add_f32_e32 v25, v8, v27
	v_fma_f32 v27, 0x3f116cb1, v14, -v58
	v_add_f32_e32 v29, v7, v56
	v_fmac_f32_e32 v57, 0xbe750f2a, v48
	v_mul_f32_e32 v50, 0xbf52af12, v45
	v_add_f32_e32 v25, v25, v26
	v_fma_f32 v26, 0xbeb58ec6, v34, -v51
	v_add_f32_e32 v24, v27, v24
	v_add_f32_e32 v27, v29, v57
	v_fma_f32 v29, 0x3f116cb1, v35, -v52
	v_mul_f32_e32 v52, 0xbf52af12, v47
	v_add_f32_e32 v25, v26, v25
	v_fma_f32 v26, 0x3f62ad3f, v4, -v54
	v_fmac_f32_e32 v32, 0x3e750f2a, v64
	v_fmac_f32_e32 v55, 0x3f6f5d39, v49
	v_mul_f32_e32 v51, 0xbf6f5d39, v44
	v_fmamk_f32 v31, v37, 0x3f116cb1, v52
	v_add_f32_e32 v25, v26, v25
	v_fma_f32 v26, 0x3f116cb1, v36, -v50
	v_mul_f32_e32 v54, 0xbf6f5d39, v48
	v_add_f32_e32 v23, v32, v23
	v_add_f32_e32 v27, v55, v27
	v_fmac_f32_e32 v62, 0x3eedf032, v63
	v_add_f32_e32 v26, v8, v26
	v_fma_f32 v30, 0xbeb58ec6, v33, -v51
	v_mul_f32_e32 v53, 0xbe750f2a, v43
	v_add_f32_e32 v31, v7, v31
	v_fmamk_f32 v32, v38, 0xbeb58ec6, v54
	v_mul_f32_e32 v56, 0xbe750f2a, v49
	v_add_f32_e32 v27, v62, v27
	v_fmac_f32_e32 v61, 0xbf52af12, v64
	v_add_f32_e32 v26, v26, v30
	v_fma_f32 v30, 0xbf788fa5, v34, -v53
	v_mul_f32_e32 v55, 0x3f29c268, v41
	v_add_f32_e32 v31, v31, v32
	v_fmamk_f32 v32, v39, 0xbf788fa5, v56
	v_mul_f32_e32 v57, 0x3f29c268, v63
	v_add_f32_e32 v25, v29, v25
	v_fma_f32 v29, 0xbf3f9e67, v14, -v65
	v_add_f32_e32 v27, v61, v27
	v_add_f32_e32 v26, v30, v26
	v_fma_f32 v30, 0xbf3f9e67, v4, -v55
	v_mul_f32_e32 v58, 0x3f7e222b, v42
	v_add_f32_e32 v31, v32, v31
	v_fmamk_f32 v32, v40, 0xbf3f9e67, v57
	v_mul_f32_e32 v61, 0x3f7e222b, v64
	v_fmac_f32_e32 v59, 0xbf29c268, v60
	v_add_f32_e32 v30, v30, v26
	v_fma_f32 v62, 0x3df6dbef, v35, -v58
	v_mul_f32_e32 v65, 0x3eedf032, v46
	v_add_f32_e32 v26, v29, v25
	v_add_f32_e32 v29, v32, v31
	v_fmamk_f32 v31, v13, 0x3df6dbef, v61
	v_mul_f32_e32 v45, 0xbeedf032, v45
	v_mul_f32_e32 v47, 0xbeedf032, v47
	v_add_f32_e32 v30, v62, v30
	v_fma_f32 v32, 0x3f62ad3f, v14, -v65
	v_add_f32_e32 v25, v59, v27
	v_add_f32_e32 v27, v31, v29
	v_fma_f32 v29, 0x3f62ad3f, v36, -v45
	v_mul_f32_e32 v44, 0xbf52af12, v44
	v_fmamk_f32 v31, v37, 0x3f62ad3f, v47
	v_mul_f32_e32 v48, 0xbf52af12, v48
	v_add_f32_e32 v30, v32, v30
	v_add_f32_e32 v29, v8, v29
	v_fma_f32 v32, 0x3f116cb1, v33, -v44
	v_mul_f32_e32 v43, 0xbf7e222b, v43
	v_add_f32_e32 v31, v7, v31
	v_fmamk_f32 v62, v38, 0x3f116cb1, v48
	v_mul_f32_e32 v49, 0xbf7e222b, v49
	v_add_f32_e32 v29, v29, v32
	v_fma_f32 v32, 0x3df6dbef, v34, -v43
	v_mul_f32_e32 v66, 0xbf6f5d39, v41
	v_add_f32_e32 v31, v31, v62
	v_fmamk_f32 v41, v39, 0x3df6dbef, v49
	v_mul_f32_e32 v62, 0xbf6f5d39, v63
	v_mul_f32_e32 v59, 0x3eedf032, v60
	v_add_f32_e32 v29, v32, v29
	v_fma_f32 v32, 0xbeb58ec6, v4, -v66
	v_mul_f32_e32 v63, 0xbf29c268, v42
	v_add_f32_e32 v31, v41, v31
	v_fmamk_f32 v41, v40, 0xbeb58ec6, v62
	v_mul_f32_e32 v64, 0xbf29c268, v64
	v_fmamk_f32 v42, v28, 0x3f62ad3f, v59
	v_add_f32_e32 v32, v32, v29
	v_fma_f32 v68, 0xbf3f9e67, v35, -v63
	v_add_f32_e32 v31, v41, v31
	v_fmamk_f32 v41, v13, 0xbf3f9e67, v64
	v_mul_f32_e32 v46, 0xbe750f2a, v46
	v_fmac_f32_e32 v69, 0x3f52af12, v60
	v_add_f32_e32 v29, v42, v27
	v_add_f32_e32 v27, v68, v32
	v_add_f32_e32 v31, v41, v31
	v_fma_f32 v32, 0xbf788fa5, v14, -v46
	v_mul_f32_e32 v60, 0xbe750f2a, v60
	v_fma_f32 v41, 0xbf788fa5, v37, -v79
	v_fma_f32 v67, 0x3f62ad3f, v38, -v67
	v_fmac_f32_e32 v50, 0x3f116cb1, v36
	v_add_f32_e32 v32, v32, v27
	v_fmamk_f32 v27, v28, 0xbf788fa5, v60
	v_add_f32_e32 v41, v7, v41
	v_fmac_f32_e32 v51, 0xbeb58ec6, v33
	v_add_f32_e32 v50, v8, v50
	v_fmac_f32_e32 v53, 0xbf788fa5, v34
	v_add_f32_e32 v31, v27, v31
	v_add_f32_e32 v27, v41, v67
	v_fma_f32 v41, 0xbf3f9e67, v39, -v85
	v_add_f32_e32 v50, v50, v51
	v_fmac_f32_e32 v78, 0xbf788fa5, v36
	v_fmac_f32_e32 v45, 0x3f62ad3f, v36
	v_fma_f32 v36, 0x3f62ad3f, v37, -v47
	v_add_f32_e32 v27, v41, v27
	v_fma_f32 v41, 0x3f116cb1, v40, -v87
	v_add_f32_e32 v50, v53, v50
	;; [unrolled: 2-line block ×3, first 2 shown]
	v_fmac_f32_e32 v81, 0x3f62ad3f, v33
	v_add_f32_e32 v27, v41, v27
	v_fma_f32 v41, 0xbeb58ec6, v13, -v89
	v_fma_f32 v47, 0xbf788fa5, v39, -v56
	v_add_f32_e32 v8, v8, v45
	v_fmac_f32_e32 v44, 0x3f116cb1, v33
	v_fma_f32 v33, 0x3f116cb1, v38, -v48
	v_add_f32_e32 v27, v41, v27
	v_fma_f32 v41, 0x3f116cb1, v37, -v52
	v_add_f32_e32 v42, v42, v81
	v_fmac_f32_e32 v83, 0xbf3f9e67, v34
	v_add_f32_e32 v8, v8, v44
	v_fmac_f32_e32 v43, 0x3df6dbef, v34
	v_add_f32_e32 v52, v7, v41
	v_add_f32_e32 v7, v7, v36
	;; [unrolled: 1-line block ×3, first 2 shown]
	v_fmac_f32_e32 v86, 0x3f116cb1, v4
	v_fmac_f32_e32 v55, 0xbf3f9e67, v4
	v_add_f32_e32 v37, v52, v53
	v_add_f32_e32 v7, v7, v33
	v_fma_f32 v33, 0x3df6dbef, v39, -v49
	v_add_f32_e32 v8, v43, v8
	v_fmac_f32_e32 v66, 0xbeb58ec6, v4
	v_add_f32_e32 v36, v47, v37
	v_fma_f32 v37, 0xbf3f9e67, v40, -v57
	v_add_f32_e32 v4, v33, v7
	v_fma_f32 v7, 0xbeb58ec6, v40, -v62
	v_add_f32_e32 v42, v86, v42
	v_fmac_f32_e32 v88, 0xbeb58ec6, v35
	v_add_f32_e32 v34, v37, v36
	v_fma_f32 v36, 0x3df6dbef, v13, -v61
	v_fma_f32 v51, 0x3df6dbef, v28, -v84
	v_add_f32_e32 v50, v55, v50
	v_fmac_f32_e32 v58, 0x3df6dbef, v35
	v_add_f32_e32 v8, v66, v8
	v_add_f32_e32 v33, v36, v34
	v_fmac_f32_e32 v63, 0xbf3f9e67, v35
	v_add_f32_e32 v4, v7, v4
	v_fma_f32 v7, 0xbf3f9e67, v13, -v64
	v_mul_u32_u24_e32 v34, 0x68, v3
	v_add_f32_e32 v42, v88, v42
	v_fmac_f32_e32 v82, 0x3df6dbef, v14
	v_add_f32_e32 v41, v51, v27
	v_add_f32_e32 v27, v58, v50
	v_fmac_f32_e32 v65, 0x3f62ad3f, v14
	v_fma_f32 v13, 0x3f62ad3f, v28, -v59
	v_add_f32_e32 v35, v63, v8
	v_fmac_f32_e32 v46, 0xbf788fa5, v14
	v_add_f32_e32 v4, v7, v4
	v_fma_f32 v28, 0xbf788fa5, v28, -v60
	v_add3_u32 v34, 0, v34, v0
	v_add_f32_e32 v23, v69, v23
	v_add_f32_e32 v42, v82, v42
	;; [unrolled: 1-line block ×6, first 2 shown]
	ds_write2_b64 v34, v[11:12], v[31:32] offset1:1
	ds_write2_b64 v34, v[29:30], v[25:26] offset0:2 offset1:3
	ds_write2_b64 v34, v[23:24], v[21:22] offset0:4 offset1:5
	;; [unrolled: 1-line block ×5, first 2 shown]
	ds_write_b64 v34, v[13:14] offset:96
.LBB0_13:
	s_or_b32 exec_lo, exec_lo, s1
	v_add_nc_u32_e32 v4, -13, v3
	s_waitcnt vmcnt(9)
	v_add_nc_u32_e32 v9, 26, v3
	v_cmp_gt_u32_e64 s0, 13, v3
	v_add_nc_u32_e32 v10, 52, v3
	v_mov_b32_e32 v8, 0
	v_mov_b32_e32 v59, 3
	v_and_b32_e32 v11, 0xff, v9
	v_cndmask_b32_e64 v4, v4, v3, s0
	v_and_b32_e32 v13, 0xff, v10
	s_load_dwordx2 s[4:5], s[4:5], 0x0
	s_waitcnt vmcnt(0) lgkmcnt(0)
	v_mul_lo_u16 v14, 0x4f, v11
	v_mul_i32_i24_e32 v7, 3, v4
	s_barrier
	buffer_gl0_inv
	v_lshlrev_b32_e32 v4, 3, v4
	v_lshrrev_b16 v41, 10, v14
	v_lshlrev_b64 v[11:12], 3, v[7:8]
	v_mul_lo_u16 v7, 0x4f, v13
	v_mul_lo_u16 v17, v41, 13
	v_and_b32_e32 v58, 0xffff, v41
	v_lshrrev_b16 v42, 10, v7
	v_add_co_u32 v11, s0, s12, v11
	v_add_co_ci_u32_e64 v12, s0, s13, v12, s0
	v_sub_nc_u16 v60, v9, v17
	v_mul_lo_u16 v7, v42, 13
	v_cmp_lt_u32_e64 s0, 12, v3
	s_clause 0x1
	global_load_dwordx4 v[13:16], v[11:12], off
	global_load_dwordx2 v[45:46], v[11:12], off offset:16
	v_mul_u32_u24_sdwa v11, v60, v59 dst_sel:DWORD dst_unused:UNUSED_PAD src0_sel:BYTE_0 src1_sel:DWORD
	v_sub_nc_u16 v61, v10, v7
	v_cndmask_b32_e64 v25, 0, 0x1a0, s0
	v_and_b32_e32 v63, 0xffff, v42
	v_mad_u32_u24 v64, 0x1a0, v58, 0
	v_lshlrev_b32_e32 v7, 3, v11
	v_mul_u32_u24_sdwa v11, v61, v59 dst_sel:DWORD dst_unused:UNUSED_PAD src0_sel:BYTE_0 src1_sel:DWORD
	v_add_nc_u32_e32 v57, 0, v25
	v_mad_u32_u24 v63, 0x1a0, v63, 0
	global_load_dwordx4 v[17:20], v7, s[12:13]
	v_lshlrev_b32_e32 v11, 3, v11
	s_clause 0x2
	global_load_dwordx2 v[47:48], v7, s[12:13] offset:16
	global_load_dwordx4 v[21:24], v11, s[12:13]
	global_load_dwordx2 v[49:50], v11, s[12:13] offset:16
	v_lshlrev_b32_e32 v7, 3, v3
	v_add3_u32 v4, v57, v4, v0
	v_add3_u32 v12, 0, v7, v0
	v_add3_u32 v11, 0, v0, v7
	ds_read2_b64 v[25:28], v12 offset0:78 offset1:104
	ds_read2_b64 v[29:32], v12 offset0:130 offset1:156
	v_add_nc_u32_e32 v62, 0x400, v12
	ds_read2_b64 v[33:36], v12 offset0:26 offset1:52
	ds_read2_b64 v[37:40], v12 offset0:182 offset1:208
	ds_read_b64 v[51:52], v11
	ds_read_b64 v[53:54], v12 offset:2288
	v_lshlrev_b32_e32 v7, 1, v3
	ds_read2_b64 v[41:44], v62 offset0:106 offset1:132
	s_waitcnt vmcnt(0) lgkmcnt(0)
	s_barrier
	v_lshlrev_b64 v[55:56], 3, v[7:8]
	v_lshlrev_b32_e32 v7, 1, v9
	buffer_gl0_inv
	v_lshlrev_b64 v[57:58], 3, v[7:8]
	v_lshlrev_b32_sdwa v7, v59, v60 dst_sel:DWORD dst_unused:UNUSED_PAD src0_sel:DWORD src1_sel:BYTE_0
	v_lshlrev_b32_sdwa v59, v59, v61 dst_sel:DWORD dst_unused:UNUSED_PAD src0_sel:DWORD src1_sel:BYTE_0
	v_add_co_u32 v55, s0, s12, v55
	v_add_co_ci_u32_e64 v56, s0, s13, v56, s0
	v_add3_u32 v7, v64, v7, v0
	v_add3_u32 v0, v63, v59, v0
	v_add_co_u32 v57, s0, s12, v57
	v_add_co_ci_u32_e64 v58, s0, s13, v58, s0
	v_mul_f32_e32 v59, v14, v26
	v_mul_f32_e32 v14, v14, v25
	;; [unrolled: 1-line block ×6, first 2 shown]
	v_fmac_f32_e32 v59, v13, v25
	v_fma_f32 v13, v13, v26, -v14
	v_fmac_f32_e32 v60, v15, v31
	v_fma_f32 v14, v15, v32, -v16
	;; [unrolled: 2-line block ×3, first 2 shown]
	v_mul_f32_e32 v31, v18, v28
	v_mul_f32_e32 v16, v18, v27
	;; [unrolled: 1-line block ×6, first 2 shown]
	v_sub_f32_e32 v25, v51, v60
	v_sub_f32_e32 v26, v52, v14
	;; [unrolled: 1-line block ×4, first 2 shown]
	v_mul_f32_e32 v42, v30, v22
	v_mul_f32_e32 v22, v29, v22
	;; [unrolled: 1-line block ×6, first 2 shown]
	v_fmac_f32_e32 v31, v17, v27
	v_fma_f32 v27, v17, v28, -v16
	v_fmac_f32_e32 v32, v37, v19
	v_fma_f32 v19, v38, v19, -v18
	;; [unrolled: 2-line block ×3, first 2 shown]
	v_fma_f32 v50, v51, 2.0, -v25
	v_fma_f32 v51, v52, 2.0, -v26
	v_fma_f32 v52, v59, 2.0, -v14
	v_fma_f32 v59, v13, 2.0, -v15
	v_add_f32_e32 v13, v25, v15
	v_sub_f32_e32 v14, v26, v14
	v_fmac_f32_e32 v42, v29, v21
	v_fma_f32 v29, v30, v21, -v22
	v_fmac_f32_e32 v45, v39, v23
	v_fma_f32 v21, v40, v23, -v24
	;; [unrolled: 2-line block ×3, first 2 shown]
	v_sub_f32_e32 v30, v33, v32
	v_sub_f32_e32 v32, v34, v19
	v_sub_f32_e32 v23, v31, v20
	v_sub_f32_e32 v24, v27, v28
	v_fma_f32 v17, v25, 2.0, -v13
	v_fma_f32 v18, v26, 2.0, -v14
	v_sub_f32_e32 v37, v35, v45
	v_sub_f32_e32 v38, v36, v21
	;; [unrolled: 1-line block ×4, first 2 shown]
	v_fma_f32 v33, v33, 2.0, -v30
	v_fma_f32 v34, v34, 2.0, -v32
	;; [unrolled: 1-line block ×4, first 2 shown]
	v_add_f32_e32 v21, v30, v24
	v_fma_f32 v35, v35, 2.0, -v37
	v_fma_f32 v36, v36, 2.0, -v38
	;; [unrolled: 1-line block ×4, first 2 shown]
	v_sub_f32_e32 v15, v50, v52
	v_sub_f32_e32 v16, v51, v59
	;; [unrolled: 1-line block ×3, first 2 shown]
	v_add_f32_e32 v23, v37, v26
	v_sub_f32_e32 v24, v38, v25
	v_sub_f32_e32 v25, v33, v28
	;; [unrolled: 1-line block ×3, first 2 shown]
	v_fma_f32 v27, v30, 2.0, -v21
	v_sub_f32_e32 v29, v35, v31
	v_sub_f32_e32 v30, v36, v39
	v_fma_f32 v19, v50, 2.0, -v15
	v_fma_f32 v20, v51, 2.0, -v16
	;; [unrolled: 1-line block ×9, first 2 shown]
	ds_write2_b64 v4, v[15:16], v[13:14] offset0:26 offset1:39
	ds_write2_b64 v4, v[19:20], v[17:18] offset1:13
	ds_write2_b64 v7, v[25:26], v[21:22] offset0:26 offset1:39
	ds_write2_b64 v7, v[33:34], v[27:28] offset1:13
	ds_write2_b64 v0, v[35:36], v[31:32] offset1:13
	ds_write2_b64 v0, v[29:30], v[23:24] offset0:26 offset1:39
	s_waitcnt lgkmcnt(0)
	s_barrier
	buffer_gl0_inv
	s_clause 0x1
	global_load_dwordx4 v[13:16], v[55:56], off offset:312
	global_load_dwordx4 v[17:20], v[57:58], off offset:312
	ds_read2_b64 v[21:24], v12 offset0:78 offset1:104
	ds_read2_b64 v[25:28], v12 offset0:182 offset1:208
	;; [unrolled: 1-line block ×4, first 2 shown]
	ds_read_b64 v[41:42], v11
	ds_read_b64 v[43:44], v12 offset:2288
	ds_read2_b64 v[37:40], v12 offset0:26 offset1:52
	v_add_nc_u32_e32 v0, 0x800, v12
	s_waitcnt vmcnt(0) lgkmcnt(0)
	s_barrier
	buffer_gl0_inv
	v_mul_f32_e32 v4, v14, v24
	v_mul_f32_e32 v7, v14, v23
	;; [unrolled: 1-line block ×16, first 2 shown]
	v_fmac_f32_e32 v4, v13, v23
	v_fma_f32 v7, v13, v24, -v7
	v_fmac_f32_e32 v45, v15, v27
	v_fma_f32 v23, v15, v28, -v46
	;; [unrolled: 2-line block ×8, first 2 shown]
	v_add_f32_e32 v15, v41, v4
	v_add_f32_e32 v16, v4, v45
	v_sub_f32_e32 v26, v7, v23
	v_add_f32_e32 v17, v42, v7
	v_add_f32_e32 v7, v7, v23
	;; [unrolled: 1-line block ×4, first 2 shown]
	v_sub_f32_e32 v29, v24, v27
	v_add_f32_e32 v20, v38, v24
	v_add_f32_e32 v24, v24, v27
	;; [unrolled: 1-line block ×6, first 2 shown]
	v_sub_f32_e32 v30, v47, v49
	v_add_f32_e32 v31, v39, v51
	v_add_f32_e32 v34, v40, v13
	v_add_f32_e32 v43, v21, v53
	v_add_f32_e32 v47, v22, v14
	v_sub_f32_e32 v4, v4, v45
	v_sub_f32_e32 v33, v13, v28
	;; [unrolled: 1-line block ×3, first 2 shown]
	v_add_f32_e32 v13, v15, v45
	v_fma_f32 v41, -0.5, v16, v41
	v_add_f32_e32 v14, v17, v23
	v_fmac_f32_e32 v42, -0.5, v7
	v_add_f32_e32 v15, v18, v49
	v_fma_f32 v17, -0.5, v19, v37
	v_fma_f32 v18, -0.5, v24, v38
	v_sub_f32_e32 v36, v51, v52
	v_sub_f32_e32 v50, v53, v54
	v_fma_f32 v39, -0.5, v32, v39
	v_fmac_f32_e32 v40, -0.5, v35
	v_fma_f32 v21, -0.5, v44, v21
	v_fmac_f32_e32 v22, -0.5, v48
	v_add_f32_e32 v16, v20, v27
	v_add_f32_e32 v19, v31, v52
	v_add_f32_e32 v20, v34, v28
	v_add_f32_e32 v23, v43, v54
	v_add_f32_e32 v24, v47, v25
	v_fmamk_f32 v25, v26, 0xbf5db3d7, v41
	v_fmac_f32_e32 v41, 0x3f5db3d7, v26
	v_fmamk_f32 v26, v4, 0x3f5db3d7, v42
	v_fmamk_f32 v27, v29, 0xbf5db3d7, v17
	;; [unrolled: 1-line block ×3, first 2 shown]
	v_fmac_f32_e32 v42, 0xbf5db3d7, v4
	v_fmac_f32_e32 v17, 0x3f5db3d7, v29
	;; [unrolled: 1-line block ×3, first 2 shown]
	v_fmamk_f32 v29, v33, 0xbf5db3d7, v39
	v_fmamk_f32 v30, v36, 0x3f5db3d7, v40
	;; [unrolled: 1-line block ×4, first 2 shown]
	v_fmac_f32_e32 v39, 0x3f5db3d7, v33
	v_fmac_f32_e32 v40, 0xbf5db3d7, v36
	;; [unrolled: 1-line block ×4, first 2 shown]
	ds_write2_b64 v12, v[13:14], v[15:16] offset1:26
	ds_write2_b64 v12, v[19:20], v[23:24] offset0:156 offset1:182
	ds_write2_b64 v12, v[25:26], v[27:28] offset0:52 offset1:78
	ds_write2_b64 v12, v[41:42], v[17:18] offset0:104 offset1:130
	ds_write2_b64 v12, v[29:30], v[31:32] offset0:208 offset1:234
	ds_write2_b64 v0, v[39:40], v[21:22] offset0:4 offset1:30
	s_waitcnt lgkmcnt(0)
	s_barrier
	buffer_gl0_inv
	s_and_saveexec_b32 s0, vcc_lo
	s_cbranch_execz .LBB0_15
; %bb.14:
	v_mov_b32_e32 v4, v8
	v_add_nc_u32_e32 v65, 0x9c, v3
	v_mul_lo_u32 v61, s5, v5
	v_mul_lo_u32 v62, s4, v6
	v_mad_u64_u32 v[33:34], null, s4, v5, 0
	v_lshlrev_b64 v[7:8], 3, v[3:4]
	v_add_nc_u32_e32 v66, 0xb6, v3
	v_add_nc_u32_e32 v67, 0xd0, v3
	;; [unrolled: 1-line block ×3, first 2 shown]
	v_mad_u64_u32 v[47:48], null, s2, v9, 0
	v_add_co_u32 v7, vcc_lo, s12, v7
	v_add_co_ci_u32_e32 v8, vcc_lo, s13, v8, vcc_lo
	v_mad_u64_u32 v[49:50], null, s2, v10, 0
	v_add_co_u32 v13, vcc_lo, 0x800, v7
	v_add_co_ci_u32_e32 v14, vcc_lo, 0, v8, vcc_lo
	s_clause 0x5
	global_load_dwordx2 v[21:22], v[7:8], off offset:1768
	global_load_dwordx2 v[23:24], v[7:8], off offset:1560
	;; [unrolled: 1-line block ×6, first 2 shown]
	ds_read2_b64 v[4:7], v0 offset0:4 offset1:30
	ds_read_b32 v69, v12 offset:1044
	ds_read_b64 v[35:36], v12 offset:1040
	ds_read_b32 v70, v12 offset:836
	ds_read_b64 v[37:38], v12 offset:832
	ds_read2_b64 v[13:16], v12 offset0:208 offset1:234
	ds_read_b32 v71, v12 offset:628
	ds_read_b64 v[39:40], v12 offset:624
	ds_read_b32 v72, v12 offset:420
	ds_read_b64 v[41:42], v12 offset:416
	ds_read_b32 v73, v12 offset:212
	ds_read2_b64 v[17:20], v12 offset0:156 offset1:182
	ds_read_b64 v[43:44], v11
	ds_read_b64 v[45:46], v12 offset:208
	ds_read_b32 v74, v11 offset:4
	v_lshlrev_b64 v[0:1], 3, v[1:2]
	v_add_nc_u32_e32 v2, 0x68, v3
	v_mad_u64_u32 v[11:12], null, s2, v3, 0
	v_add_nc_u32_e32 v8, 0x82, v3
	v_mad_u64_u32 v[51:52], null, s2, v65, 0
	v_mad_u64_u32 v[53:54], null, s2, v66, 0
	;; [unrolled: 1-line block ×3, first 2 shown]
	v_add_nc_u32_e32 v75, 0xea, v3
	v_mad_u64_u32 v[57:58], null, s2, v68, 0
	v_lshrrev_b32_e32 v63, 2, v2
	v_lshrrev_b32_e32 v64, 2, v8
	v_add3_u32 v34, v34, v62, v61
	s_waitcnt lgkmcnt(9)
	v_mad_u64_u32 v[61:62], null, s3, v3, v[12:13]
	v_mad_u64_u32 v[59:60], null, s2, v75, 0
	v_mul_hi_u32 v76, 0x34834835, v63
	v_mov_b32_e32 v3, v52
	v_mad_u64_u32 v[62:63], null, s3, v9, v[48:49]
	v_mul_hi_u32 v77, 0x34834835, v64
	v_mov_b32_e32 v9, v54
	v_mad_u64_u32 v[63:64], null, s3, v10, v[50:51]
	v_mov_b32_e32 v10, v56
	v_lshlrev_b64 v[33:34], 3, v[33:34]
	v_mov_b32_e32 v12, v58
	v_mad_u64_u32 v[64:65], null, s3, v65, v[3:4]
	v_mad_u64_u32 v[65:66], null, s3, v66, v[9:10]
	;; [unrolled: 1-line block ×3, first 2 shown]
	v_mov_b32_e32 v48, v60
	v_mad_u64_u32 v[66:67], null, s3, v68, v[12:13]
	v_lshrrev_b32_e32 v3, 3, v76
	v_lshrrev_b32_e32 v10, 3, v77
	v_add_co_u32 v52, vcc_lo, s10, v33
	v_add_co_ci_u32_e32 v54, vcc_lo, s11, v34, vcc_lo
	v_mad_u64_u32 v[67:68], null, s3, v75, v[48:49]
	v_mad_u64_u32 v[2:3], null, 0x9c, v3, v[2:3]
	;; [unrolled: 1-line block ×3, first 2 shown]
	v_add_co_u32 v68, vcc_lo, v52, v0
	v_mov_b32_e32 v12, v61
	v_mov_b32_e32 v48, v62
	;; [unrolled: 1-line block ×3, first 2 shown]
	v_add_co_ci_u32_e32 v75, vcc_lo, v54, v1, vcc_lo
	v_mov_b32_e32 v54, v65
	v_mov_b32_e32 v58, v66
	v_lshlrev_b64 v[0:1], 3, v[11:12]
	v_mov_b32_e32 v52, v64
	v_lshlrev_b64 v[10:11], 3, v[47:48]
	v_lshlrev_b64 v[47:48], 3, v[49:50]
	v_mov_b32_e32 v56, v9
	v_mov_b32_e32 v60, v67
	v_lshlrev_b64 v[49:50], 3, v[53:54]
	v_lshlrev_b64 v[53:54], 3, v[57:58]
	v_mad_u64_u32 v[57:58], null, s2, v2, 0
	v_add_nc_u32_e32 v66, 0x9c, v2
	v_add_nc_u32_e32 v67, 0x9c, v33
	v_lshlrev_b64 v[8:9], 3, v[51:52]
	v_lshlrev_b64 v[51:52], 3, v[55:56]
	;; [unrolled: 1-line block ×3, first 2 shown]
	v_mad_u64_u32 v[59:60], null, s2, v33, 0
	v_mad_u64_u32 v[61:62], null, s2, v66, 0
	;; [unrolled: 1-line block ×3, first 2 shown]
	v_mov_b32_e32 v3, v58
	v_add_co_u32 v0, vcc_lo, v68, v0
	v_add_co_ci_u32_e32 v1, vcc_lo, v75, v1, vcc_lo
	v_add_co_u32 v10, vcc_lo, v68, v10
	v_mov_b32_e32 v12, v60
	v_mad_u64_u32 v[2:3], null, s3, v2, v[3:4]
	v_add_co_ci_u32_e32 v11, vcc_lo, v75, v11, vcc_lo
	v_mov_b32_e32 v3, v62
	v_mov_b32_e32 v34, v64
	v_add_co_u32 v47, vcc_lo, v68, v47
	v_add_co_ci_u32_e32 v48, vcc_lo, v75, v48, vcc_lo
	v_add_co_u32 v8, vcc_lo, v68, v8
	v_mad_u64_u32 v[64:65], null, s3, v33, v[12:13]
	v_mad_u64_u32 v[65:66], null, s3, v66, v[3:4]
	;; [unrolled: 1-line block ×3, first 2 shown]
	v_add_co_ci_u32_e32 v9, vcc_lo, v75, v9, vcc_lo
	v_add_co_u32 v49, vcc_lo, v68, v49
	v_add_co_ci_u32_e32 v50, vcc_lo, v75, v50, vcc_lo
	v_add_co_u32 v51, vcc_lo, v68, v51
	v_add_co_ci_u32_e32 v52, vcc_lo, v75, v52, vcc_lo
	v_mov_b32_e32 v58, v2
	v_add_co_u32 v2, vcc_lo, v68, v53
	v_mov_b32_e32 v60, v64
	v_mov_b32_e32 v62, v65
	v_mov_b32_e32 v64, v33
	v_add_co_ci_u32_e32 v3, vcc_lo, v75, v54, vcc_lo
	v_add_co_u32 v33, vcc_lo, v68, v55
	v_lshlrev_b64 v[53:54], 3, v[57:58]
	v_add_co_ci_u32_e32 v34, vcc_lo, v75, v56, vcc_lo
	v_lshlrev_b64 v[55:56], 3, v[59:60]
	v_lshlrev_b64 v[57:58], 3, v[61:62]
	;; [unrolled: 1-line block ×3, first 2 shown]
	v_add_co_u32 v53, vcc_lo, v68, v53
	v_add_co_ci_u32_e32 v54, vcc_lo, v75, v54, vcc_lo
	v_add_co_u32 v55, vcc_lo, v68, v55
	v_add_co_ci_u32_e32 v56, vcc_lo, v75, v56, vcc_lo
	;; [unrolled: 2-line block ×4, first 2 shown]
	s_waitcnt vmcnt(3) lgkmcnt(3)
	v_mul_f32_e32 v62, v26, v19
	v_mul_f32_e32 v12, v22, v15
	;; [unrolled: 1-line block ×4, first 2 shown]
	s_waitcnt vmcnt(2)
	v_mul_f32_e32 v63, v28, v17
	v_mul_f32_e32 v28, v28, v18
	;; [unrolled: 1-line block ×4, first 2 shown]
	s_waitcnt vmcnt(1)
	v_mul_f32_e32 v64, v30, v6
	v_mul_f32_e32 v65, v29, v6
	s_waitcnt vmcnt(0)
	v_mul_f32_e32 v6, v32, v4
	v_mul_f32_e32 v32, v32, v5
	v_fmac_f32_e32 v22, v21, v15
	v_fma_f32 v14, v23, v14, -v61
	v_fma_f32 v15, v27, v18, -v63
	v_fmac_f32_e32 v28, v27, v17
	v_fma_f32 v12, v21, v16, -v12
	v_fmac_f32_e32 v24, v23, v13
	;; [unrolled: 2-line block ×5, first 2 shown]
	v_sub_f32_e32 v7, v42, v14
	s_waitcnt lgkmcnt(2)
	v_sub_f32_e32 v15, v44, v15
	v_sub_f32_e32 v14, v43, v28
	v_sub_f32_e32 v5, v40, v12
	s_waitcnt lgkmcnt(1)
	v_sub_f32_e32 v13, v46, v13
	v_sub_f32_e32 v12, v45, v26
	;; [unrolled: 1-line block ×8, first 2 shown]
	s_waitcnt lgkmcnt(0)
	v_fma_f32 v27, v74, 2.0, -v15
	v_fma_f32 v26, v43, 2.0, -v14
	;; [unrolled: 1-line block ×12, first 2 shown]
	global_store_dwordx2 v[0:1], v[26:27], off
	global_store_dwordx2 v[8:9], v[14:15], off
	;; [unrolled: 1-line block ×12, first 2 shown]
.LBB0_15:
	s_endpgm
	.section	.rodata,"a",@progbits
	.p2align	6, 0x0
	.amdhsa_kernel fft_rtc_back_len312_factors_13_4_3_2_wgs_52_tpt_26_sp_op_CI_CI_sbrr_dirReg
		.amdhsa_group_segment_fixed_size 0
		.amdhsa_private_segment_fixed_size 0
		.amdhsa_kernarg_size 104
		.amdhsa_user_sgpr_count 6
		.amdhsa_user_sgpr_private_segment_buffer 1
		.amdhsa_user_sgpr_dispatch_ptr 0
		.amdhsa_user_sgpr_queue_ptr 0
		.amdhsa_user_sgpr_kernarg_segment_ptr 1
		.amdhsa_user_sgpr_dispatch_id 0
		.amdhsa_user_sgpr_flat_scratch_init 0
		.amdhsa_user_sgpr_private_segment_size 0
		.amdhsa_wavefront_size32 1
		.amdhsa_uses_dynamic_stack 0
		.amdhsa_system_sgpr_private_segment_wavefront_offset 0
		.amdhsa_system_sgpr_workgroup_id_x 1
		.amdhsa_system_sgpr_workgroup_id_y 0
		.amdhsa_system_sgpr_workgroup_id_z 0
		.amdhsa_system_sgpr_workgroup_info 0
		.amdhsa_system_vgpr_workitem_id 0
		.amdhsa_next_free_vgpr 90
		.amdhsa_next_free_sgpr 31
		.amdhsa_reserve_vcc 1
		.amdhsa_reserve_flat_scratch 0
		.amdhsa_float_round_mode_32 0
		.amdhsa_float_round_mode_16_64 0
		.amdhsa_float_denorm_mode_32 3
		.amdhsa_float_denorm_mode_16_64 3
		.amdhsa_dx10_clamp 1
		.amdhsa_ieee_mode 1
		.amdhsa_fp16_overflow 0
		.amdhsa_workgroup_processor_mode 1
		.amdhsa_memory_ordered 1
		.amdhsa_forward_progress 0
		.amdhsa_shared_vgpr_count 0
		.amdhsa_exception_fp_ieee_invalid_op 0
		.amdhsa_exception_fp_denorm_src 0
		.amdhsa_exception_fp_ieee_div_zero 0
		.amdhsa_exception_fp_ieee_overflow 0
		.amdhsa_exception_fp_ieee_underflow 0
		.amdhsa_exception_fp_ieee_inexact 0
		.amdhsa_exception_int_div_zero 0
	.end_amdhsa_kernel
	.text
.Lfunc_end0:
	.size	fft_rtc_back_len312_factors_13_4_3_2_wgs_52_tpt_26_sp_op_CI_CI_sbrr_dirReg, .Lfunc_end0-fft_rtc_back_len312_factors_13_4_3_2_wgs_52_tpt_26_sp_op_CI_CI_sbrr_dirReg
                                        ; -- End function
	.section	.AMDGPU.csdata,"",@progbits
; Kernel info:
; codeLenInByte = 7992
; NumSgprs: 33
; NumVgprs: 90
; ScratchSize: 0
; MemoryBound: 0
; FloatMode: 240
; IeeeMode: 1
; LDSByteSize: 0 bytes/workgroup (compile time only)
; SGPRBlocks: 4
; VGPRBlocks: 11
; NumSGPRsForWavesPerEU: 33
; NumVGPRsForWavesPerEU: 90
; Occupancy: 10
; WaveLimiterHint : 1
; COMPUTE_PGM_RSRC2:SCRATCH_EN: 0
; COMPUTE_PGM_RSRC2:USER_SGPR: 6
; COMPUTE_PGM_RSRC2:TRAP_HANDLER: 0
; COMPUTE_PGM_RSRC2:TGID_X_EN: 1
; COMPUTE_PGM_RSRC2:TGID_Y_EN: 0
; COMPUTE_PGM_RSRC2:TGID_Z_EN: 0
; COMPUTE_PGM_RSRC2:TIDIG_COMP_CNT: 0
	.text
	.p2alignl 6, 3214868480
	.fill 48, 4, 3214868480
	.type	__hip_cuid_e6db65bbc6dd7fc0,@object ; @__hip_cuid_e6db65bbc6dd7fc0
	.section	.bss,"aw",@nobits
	.globl	__hip_cuid_e6db65bbc6dd7fc0
__hip_cuid_e6db65bbc6dd7fc0:
	.byte	0                               ; 0x0
	.size	__hip_cuid_e6db65bbc6dd7fc0, 1

	.ident	"AMD clang version 19.0.0git (https://github.com/RadeonOpenCompute/llvm-project roc-6.4.0 25133 c7fe45cf4b819c5991fe208aaa96edf142730f1d)"
	.section	".note.GNU-stack","",@progbits
	.addrsig
	.addrsig_sym __hip_cuid_e6db65bbc6dd7fc0
	.amdgpu_metadata
---
amdhsa.kernels:
  - .args:
      - .actual_access:  read_only
        .address_space:  global
        .offset:         0
        .size:           8
        .value_kind:     global_buffer
      - .offset:         8
        .size:           8
        .value_kind:     by_value
      - .actual_access:  read_only
        .address_space:  global
        .offset:         16
        .size:           8
        .value_kind:     global_buffer
      - .actual_access:  read_only
        .address_space:  global
        .offset:         24
        .size:           8
        .value_kind:     global_buffer
      - .actual_access:  read_only
        .address_space:  global
        .offset:         32
        .size:           8
        .value_kind:     global_buffer
      - .offset:         40
        .size:           8
        .value_kind:     by_value
      - .actual_access:  read_only
        .address_space:  global
        .offset:         48
        .size:           8
        .value_kind:     global_buffer
      - .actual_access:  read_only
        .address_space:  global
        .offset:         56
        .size:           8
        .value_kind:     global_buffer
      - .offset:         64
        .size:           4
        .value_kind:     by_value
      - .actual_access:  read_only
        .address_space:  global
        .offset:         72
        .size:           8
        .value_kind:     global_buffer
      - .actual_access:  read_only
        .address_space:  global
        .offset:         80
        .size:           8
        .value_kind:     global_buffer
      - .actual_access:  read_only
        .address_space:  global
        .offset:         88
        .size:           8
        .value_kind:     global_buffer
      - .actual_access:  write_only
        .address_space:  global
        .offset:         96
        .size:           8
        .value_kind:     global_buffer
    .group_segment_fixed_size: 0
    .kernarg_segment_align: 8
    .kernarg_segment_size: 104
    .language:       OpenCL C
    .language_version:
      - 2
      - 0
    .max_flat_workgroup_size: 52
    .name:           fft_rtc_back_len312_factors_13_4_3_2_wgs_52_tpt_26_sp_op_CI_CI_sbrr_dirReg
    .private_segment_fixed_size: 0
    .sgpr_count:     33
    .sgpr_spill_count: 0
    .symbol:         fft_rtc_back_len312_factors_13_4_3_2_wgs_52_tpt_26_sp_op_CI_CI_sbrr_dirReg.kd
    .uniform_work_group_size: 1
    .uses_dynamic_stack: false
    .vgpr_count:     90
    .vgpr_spill_count: 0
    .wavefront_size: 32
    .workgroup_processor_mode: 1
amdhsa.target:   amdgcn-amd-amdhsa--gfx1030
amdhsa.version:
  - 1
  - 2
...

	.end_amdgpu_metadata
